;; amdgpu-corpus repo=ROCm/rocFFT kind=compiled arch=gfx906 opt=O3
	.text
	.amdgcn_target "amdgcn-amd-amdhsa--gfx906"
	.amdhsa_code_object_version 6
	.protected	bluestein_single_back_len147_dim1_half_op_CI_CI ; -- Begin function bluestein_single_back_len147_dim1_half_op_CI_CI
	.globl	bluestein_single_back_len147_dim1_half_op_CI_CI
	.p2align	8
	.type	bluestein_single_back_len147_dim1_half_op_CI_CI,@function
bluestein_single_back_len147_dim1_half_op_CI_CI: ; @bluestein_single_back_len147_dim1_half_op_CI_CI
; %bb.0:
	v_mul_u32_u24_e32 v1, 0xc31, v0
	s_load_dwordx4 s[8:11], s[4:5], 0x28
	v_lshrrev_b32_e32 v1, 16, v1
	v_mad_u64_u32 v[4:5], s[0:1], s6, 3, v[1:2]
	v_mov_b32_e32 v5, 0
	s_waitcnt lgkmcnt(0)
	v_cmp_gt_u64_e32 vcc, s[8:9], v[4:5]
	s_and_saveexec_b64 s[0:1], vcc
	s_cbranch_execz .LBB0_10
; %bb.1:
	s_load_dwordx4 s[0:3], s[4:5], 0x18
	s_load_dwordx4 s[12:15], s[4:5], 0x0
	v_mul_lo_u16_e32 v1, 21, v1
	v_sub_u16_e32 v30, v0, v1
	v_lshlrev_b32_e32 v32, 2, v30
	s_waitcnt lgkmcnt(0)
	s_load_dwordx4 s[16:19], s[0:1], 0x0
	s_mov_b32 s7, 0xbcab
	s_movk_i32 s6, 0x2b26
	s_load_dwordx2 s[4:5], s[4:5], 0x38
	s_waitcnt lgkmcnt(0)
	v_mad_u64_u32 v[0:1], s[0:1], s18, v4, 0
	v_mad_u64_u32 v[2:3], s[0:1], s16, v30, 0
	v_mad_u64_u32 v[5:6], s[0:1], s19, v4, v[1:2]
	v_mad_u64_u32 v[6:7], s[0:1], s17, v30, v[3:4]
	v_mov_b32_e32 v1, v5
	v_lshlrev_b64 v[0:1], 2, v[0:1]
	v_mov_b32_e32 v7, s11
	v_mov_b32_e32 v3, v6
	v_add_co_u32_e32 v5, vcc, s10, v0
	v_addc_co_u32_e32 v6, vcc, v7, v1, vcc
	v_lshlrev_b64 v[0:1], 2, v[2:3]
	s_mul_i32 s0, s17, 0x54
	v_add_co_u32_e32 v0, vcc, v5, v0
	s_mul_hi_u32 s1, s16, 0x54
	v_addc_co_u32_e32 v1, vcc, v6, v1, vcc
	s_add_i32 s0, s1, s0
	s_mul_i32 s1, s16, 0x54
	v_mov_b32_e32 v3, s0
	v_add_co_u32_e32 v2, vcc, s1, v0
	v_addc_co_u32_e32 v3, vcc, v1, v3, vcc
	global_load_dword v5, v[0:1], off
	global_load_dword v6, v[2:3], off
	global_load_dword v31, v32, s[12:13]
	global_load_dword v29, v32, s[12:13] offset:84
	v_mov_b32_e32 v1, s0
	v_add_co_u32_e32 v0, vcc, s1, v2
	v_addc_co_u32_e32 v1, vcc, v3, v1, vcc
	global_load_dword v2, v[0:1], off
	global_load_dword v28, v32, s[12:13] offset:168
	v_mov_b32_e32 v3, s0
	v_add_co_u32_e32 v0, vcc, s1, v0
	v_addc_co_u32_e32 v1, vcc, v1, v3, vcc
	global_load_dword v3, v[0:1], off
	;; [unrolled: 5-line block ×5, first 2 shown]
	global_load_dword v23, v32, s[12:13] offset:504
	s_mov_b32 s0, 0xaaaaaaab
	v_mul_hi_u32 v0, v4, s0
	s_load_dwordx4 s[8:11], s[2:3], 0x0
	s_movk_i32 s0, 0x3a52
	s_movk_i32 s2, 0x39e0
	v_lshrrev_b32_e32 v0, 1, v0
	v_lshl_add_u32 v0, v0, 1, v0
	v_sub_u32_e32 v0, v4, v0
	v_mul_u32_u24_e32 v0, 0x93, v0
	v_lshlrev_b32_e32 v35, 2, v0
	v_add_u32_e32 v24, v32, v35
	s_movk_i32 s1, 0x3b00
	s_movk_i32 s3, 0x3574
	s_mov_b32 s16, 0xb846
	s_mov_b32 s17, 0xffff
	s_waitcnt vmcnt(13)
	v_lshrrev_b32_e32 v0, 16, v5
	s_waitcnt vmcnt(12)
	v_lshrrev_b32_e32 v10, 16, v6
	s_waitcnt vmcnt(11)
	v_mul_f16_sdwa v1, v31, v5 dst_sel:DWORD dst_unused:UNUSED_PAD src0_sel:WORD_1 src1_sel:DWORD
	v_fma_f16 v1, v31, v0, -v1
	v_mul_f16_sdwa v0, v31, v0 dst_sel:DWORD dst_unused:UNUSED_PAD src0_sel:WORD_1 src1_sel:DWORD
	s_waitcnt vmcnt(10)
	v_mul_f16_sdwa v11, v29, v6 dst_sel:DWORD dst_unused:UNUSED_PAD src0_sel:WORD_1 src1_sel:DWORD
	v_fma_f16 v0, v31, v5, v0
	v_fma_f16 v5, v29, v10, -v11
	v_mul_f16_sdwa v10, v29, v10 dst_sel:DWORD dst_unused:UNUSED_PAD src0_sel:WORD_1 src1_sel:DWORD
	s_waitcnt vmcnt(9)
	v_lshrrev_b32_e32 v11, 16, v2
	s_waitcnt vmcnt(8)
	v_mul_f16_sdwa v12, v28, v2 dst_sel:DWORD dst_unused:UNUSED_PAD src0_sel:WORD_1 src1_sel:DWORD
	v_pack_b32_f16 v0, v0, v1
	v_fma_f16 v1, v29, v6, v10
	v_fma_f16 v6, v28, v11, -v12
	v_mul_f16_sdwa v10, v28, v11 dst_sel:DWORD dst_unused:UNUSED_PAD src0_sel:WORD_1 src1_sel:DWORD
	s_waitcnt vmcnt(7)
	v_lshrrev_b32_e32 v11, 16, v3
	s_waitcnt vmcnt(6)
	v_mul_f16_sdwa v12, v27, v3 dst_sel:DWORD dst_unused:UNUSED_PAD src0_sel:WORD_1 src1_sel:DWORD
	v_pack_b32_f16 v1, v1, v5
	v_fma_f16 v2, v28, v2, v10
	v_mul_f16_sdwa v10, v27, v11 dst_sel:DWORD dst_unused:UNUSED_PAD src0_sel:WORD_1 src1_sel:DWORD
	v_fma_f16 v5, v27, v11, -v12
	ds_write2_b32 v24, v0, v1 offset1:21
	v_fma_f16 v1, v27, v3, v10
	v_pack_b32_f16 v0, v2, v6
	v_pack_b32_f16 v1, v1, v5
	ds_write2_b32 v24, v0, v1 offset0:42 offset1:63
	s_waitcnt vmcnt(5)
	v_lshrrev_b32_e32 v0, 16, v7
	s_waitcnt vmcnt(4)
	v_mul_f16_sdwa v1, v26, v0 dst_sel:DWORD dst_unused:UNUSED_PAD src0_sel:WORD_1 src1_sel:DWORD
	v_mul_f16_sdwa v2, v26, v7 dst_sel:DWORD dst_unused:UNUSED_PAD src0_sel:WORD_1 src1_sel:DWORD
	v_fma_f16 v1, v26, v7, v1
	v_fma_f16 v0, v26, v0, -v2
	v_pack_b32_f16 v0, v1, v0
	s_waitcnt vmcnt(3)
	v_lshrrev_b32_e32 v1, 16, v8
	s_waitcnt vmcnt(2)
	v_mul_f16_sdwa v2, v25, v1 dst_sel:DWORD dst_unused:UNUSED_PAD src0_sel:WORD_1 src1_sel:DWORD
	v_mul_f16_sdwa v3, v25, v8 dst_sel:DWORD dst_unused:UNUSED_PAD src0_sel:WORD_1 src1_sel:DWORD
	v_fma_f16 v2, v25, v8, v2
	v_fma_f16 v1, v25, v1, -v3
	v_pack_b32_f16 v1, v2, v1
	ds_write2_b32 v24, v0, v1 offset0:84 offset1:105
	s_waitcnt vmcnt(1)
	v_lshrrev_b32_e32 v0, 16, v9
	s_waitcnt vmcnt(0)
	v_mul_f16_sdwa v1, v23, v0 dst_sel:DWORD dst_unused:UNUSED_PAD src0_sel:WORD_1 src1_sel:DWORD
	v_mul_f16_sdwa v2, v23, v9 dst_sel:DWORD dst_unused:UNUSED_PAD src0_sel:WORD_1 src1_sel:DWORD
	v_fma_f16 v1, v23, v9, v1
	v_fma_f16 v0, v23, v0, -v2
	v_pack_b32_f16 v0, v1, v0
	ds_write_b32 v24, v0 offset:504
	s_waitcnt lgkmcnt(0)
	; wave barrier
	s_waitcnt lgkmcnt(0)
	ds_read2_b32 v[0:1], v24 offset0:42 offset1:63
	ds_read2_b32 v[2:3], v24 offset0:84 offset1:105
	ds_read2_b32 v[5:6], v24 offset1:21
	ds_read_b32 v7, v24 offset:504
	s_waitcnt lgkmcnt(0)
	; wave barrier
	s_waitcnt lgkmcnt(0)
	v_pk_add_f16 v8, v0, v3
	v_pk_add_f16 v9, v1, v2
	v_pk_add_f16 v0, v0, v3 neg_lo:[0,1] neg_hi:[0,1]
	v_pk_add_f16 v1, v2, v1 neg_lo:[0,1] neg_hi:[0,1]
	v_pk_add_f16 v2, v6, v7
	v_pk_add_f16 v3, v8, v2
	v_pk_add_f16 v6, v6, v7 neg_lo:[0,1] neg_hi:[0,1]
	v_pk_add_f16 v10, v1, v0
	v_pk_add_f16 v3, v9, v3
	v_pk_add_f16 v7, v8, v2 neg_lo:[0,1] neg_hi:[0,1]
	v_pk_add_f16 v2, v2, v9 neg_lo:[0,1] neg_hi:[0,1]
	v_pk_add_f16 v10, v10, v6
	v_pk_add_f16 v11, v6, v1 neg_lo:[0,1] neg_hi:[0,1]
	v_pk_add_f16 v6, v0, v6 neg_lo:[0,1] neg_hi:[0,1]
	v_pk_add_f16 v5, v5, v3
	v_pk_mul_f16 v2, v2, s0 op_sel_hi:[1,0]
	v_pk_mul_f16 v7, v7, s2 op_sel_hi:[1,0]
	;; [unrolled: 1-line block ×3, first 2 shown]
	v_pk_add_f16 v8, v9, v8 neg_lo:[0,1] neg_hi:[0,1]
	v_pk_add_f16 v0, v1, v0 neg_lo:[0,1] neg_hi:[0,1]
	v_pk_fma_f16 v3, v3, s7, v5 op_sel_hi:[1,0,1]
	v_pk_add_f16 v12, v2, v7 op_sel:[1,1] op_sel_hi:[0,0] neg_lo:[1,1] neg_hi:[1,1]
	s_movk_i32 s0, 0x370e
	v_pk_fma_f16 v13, v11, s3, v6 op_sel_hi:[1,0,1] neg_lo:[1,0,1] neg_hi:[1,0,1]
	v_pk_fma_f16 v1, v8, s6, v7 op_sel_hi:[1,0,1] neg_lo:[1,0,0] neg_hi:[1,0,0]
	;; [unrolled: 1-line block ×3, first 2 shown]
	v_pk_add_f16 v12, v12, v3 op_sel:[0,1] op_sel_hi:[1,0]
	v_pk_fma_f16 v13, v10, s0, v13 op_sel_hi:[1,0,1]
	v_pk_add_f16 v1, v1, v3
	v_pk_fma_f16 v6, v10, s0, v6 op_sel_hi:[1,0,1]
	v_pk_add_f16 v14, v12, v13
	v_pk_add_f16 v12, v12, v13 neg_lo:[0,1] neg_hi:[0,1]
	v_pk_add_f16 v7, v1, v6 op_sel:[0,1] op_sel_hi:[1,0] neg_lo:[0,1] neg_hi:[0,1]
	v_pk_add_f16 v1, v1, v6 op_sel:[0,1] op_sel_hi:[1,0]
	v_mul_lo_u16_e32 v6, 7, v30
	v_lshl_add_u32 v33, v6, 2, v35
	v_alignbit_b32 v6, v12, v14, 16
	v_bfi_b32 v9, s17, v7, v1
	ds_write2_b32 v33, v6, v9 offset0:2 offset1:3
	v_bfi_b32 v1, s17, v1, v7
	v_alignbit_b32 v6, v14, v12, 16
	ds_write2_b32 v33, v1, v6 offset0:4 offset1:5
	v_pk_fma_f16 v1, v8, s6, v2 op_sel_hi:[1,0,1]
	v_pk_mul_f16 v2, v11, s3 op_sel_hi:[1,0]
	v_pk_fma_f16 v0, v0, s16, v2 op_sel_hi:[1,0,1]
	v_pk_add_f16 v1, v1, v3
	v_pk_fma_f16 v0, v10, s0, v0 op_sel_hi:[1,0,1]
	v_pk_add_f16 v2, v1, v0 op_sel:[0,1] op_sel_hi:[1,0]
	v_pk_add_f16 v0, v1, v0 op_sel:[0,1] op_sel_hi:[1,0] neg_lo:[0,1] neg_hi:[0,1]
	v_bfi_b32 v1, s17, v0, v2
	v_bfi_b32 v0, s17, v2, v0
	ds_write2_b32 v33, v5, v0 offset1:1
	ds_write_b32 v33, v1 offset:24
	v_mov_b32_e32 v0, 37
	v_mul_lo_u16_sdwa v0, v30, v0 dst_sel:DWORD dst_unused:UNUSED_PAD src0_sel:BYTE_0 src1_sel:DWORD
	v_sub_u16_sdwa v1, v30, v0 dst_sel:DWORD dst_unused:UNUSED_PAD src0_sel:DWORD src1_sel:BYTE_1
	v_lshrrev_b16_e32 v1, 1, v1
	v_and_b32_e32 v1, 0x7f, v1
	v_add_u16_sdwa v0, v1, v0 dst_sel:DWORD dst_unused:UNUSED_PAD src0_sel:DWORD src1_sel:BYTE_1
	v_lshrrev_b16_e32 v11, 2, v0
	v_mul_lo_u16_e32 v0, 7, v11
	v_sub_u16_e32 v12, v30, v0
	v_mov_b32_e32 v0, 6
	v_mul_u32_u24_sdwa v0, v12, v0 dst_sel:DWORD dst_unused:UNUSED_PAD src0_sel:BYTE_0 src1_sel:DWORD
	v_lshlrev_b32_e32 v7, 2, v0
	s_waitcnt lgkmcnt(0)
	; wave barrier
	s_waitcnt lgkmcnt(0)
	global_load_dwordx4 v[0:3], v7, s[14:15]
	global_load_dwordx2 v[5:6], v7, s[14:15] offset:16
	ds_read2_b32 v[7:8], v24 offset0:42 offset1:63
	ds_read_b32 v18, v24 offset:504
	v_mul_u32_u24_e32 v11, 49, v11
	v_add_u32_sdwa v11, v11, v12 dst_sel:DWORD dst_unused:UNUSED_PAD src0_sel:DWORD src1_sel:BYTE_0
	s_waitcnt lgkmcnt(1)
	v_lshrrev_b32_e32 v9, 16, v7
	s_waitcnt lgkmcnt(0)
	v_lshrrev_b32_e32 v20, 16, v18
	s_waitcnt vmcnt(1)
	v_mul_f16_sdwa v10, v7, v1 dst_sel:DWORD dst_unused:UNUSED_PAD src0_sel:DWORD src1_sel:WORD_1
	v_fma_f16 v13, v9, v1, v10
	v_mul_f16_sdwa v9, v9, v1 dst_sel:DWORD dst_unused:UNUSED_PAD src0_sel:DWORD src1_sel:WORD_1
	v_fma_f16 v14, v7, v1, -v9
	ds_read2_b32 v[9:10], v24 offset0:84 offset1:105
	v_lshrrev_b32_e32 v7, 16, v8
	v_mul_f16_sdwa v15, v7, v2 dst_sel:DWORD dst_unused:UNUSED_PAD src0_sel:DWORD src1_sel:WORD_1
	v_fma_f16 v15, v8, v2, -v15
	v_mul_f16_sdwa v8, v8, v2 dst_sel:DWORD dst_unused:UNUSED_PAD src0_sel:DWORD src1_sel:WORD_1
	v_fma_f16 v16, v7, v2, v8
	s_waitcnt lgkmcnt(0)
	v_lshrrev_b32_e32 v7, 16, v9
	v_mul_f16_sdwa v8, v9, v3 dst_sel:DWORD dst_unused:UNUSED_PAD src0_sel:DWORD src1_sel:WORD_1
	v_fma_f16 v17, v7, v3, v8
	v_mul_f16_sdwa v7, v7, v3 dst_sel:DWORD dst_unused:UNUSED_PAD src0_sel:DWORD src1_sel:WORD_1
	v_fma_f16 v9, v9, v3, -v7
	v_lshrrev_b32_e32 v7, 16, v10
	s_waitcnt vmcnt(0)
	v_mul_f16_sdwa v8, v7, v5 dst_sel:DWORD dst_unused:UNUSED_PAD src0_sel:DWORD src1_sel:WORD_1
	v_fma_f16 v19, v10, v5, -v8
	v_mul_f16_sdwa v8, v10, v5 dst_sel:DWORD dst_unused:UNUSED_PAD src0_sel:DWORD src1_sel:WORD_1
	v_fma_f16 v10, v7, v5, v8
	ds_read2_b32 v[7:8], v24 offset1:21
	v_mul_f16_sdwa v21, v20, v6 dst_sel:DWORD dst_unused:UNUSED_PAD src0_sel:DWORD src1_sel:WORD_1
	v_fma_f16 v21, v18, v6, -v21
	v_mul_f16_sdwa v18, v18, v6 dst_sel:DWORD dst_unused:UNUSED_PAD src0_sel:DWORD src1_sel:WORD_1
	v_fma_f16 v18, v20, v6, v18
	s_waitcnt lgkmcnt(0)
	v_lshrrev_b32_e32 v20, 16, v8
	v_mul_f16_sdwa v22, v8, v0 dst_sel:DWORD dst_unused:UNUSED_PAD src0_sel:DWORD src1_sel:WORD_1
	v_fma_f16 v22, v20, v0, v22
	v_mul_f16_sdwa v20, v20, v0 dst_sel:DWORD dst_unused:UNUSED_PAD src0_sel:DWORD src1_sel:WORD_1
	v_fma_f16 v8, v8, v0, -v20
	v_add_f16_e32 v20, v8, v21
	v_sub_f16_e32 v8, v8, v21
	v_add_f16_e32 v21, v22, v18
	v_sub_f16_e32 v18, v22, v18
	v_add_f16_e32 v22, v14, v19
	v_sub_f16_e32 v14, v14, v19
	v_add_f16_e32 v19, v13, v10
	v_sub_f16_e32 v10, v13, v10
	v_add_f16_e32 v13, v15, v9
	v_sub_f16_e32 v9, v9, v15
	v_add_f16_e32 v15, v16, v17
	v_sub_f16_e32 v16, v17, v16
	v_add_f16_e32 v17, v22, v20
	v_add_f16_e32 v34, v19, v21
	;; [unrolled: 1-line block ×5, first 2 shown]
	v_add_f16_sdwa v7, v7, v34 dst_sel:DWORD dst_unused:UNUSED_PAD src0_sel:WORD_1 src1_sel:DWORD
	v_fma_f16 v12, v17, s7, v36
	v_fma_f16 v17, v34, s7, v7
	v_sub_f16_e32 v34, v20, v13
	v_pack_b32_f16 v7, v36, v7
	v_sub_f16_e32 v13, v13, v22
	v_sub_f16_e32 v36, v21, v15
	v_mul_f16_e32 v41, 0x3a52, v34
	v_sub_f16_e32 v15, v15, v19
	v_sub_f16_e32 v38, v9, v14
	v_mul_f16_e32 v36, 0x3a52, v36
	v_fma_f16 v34, v13, s6, v41
	v_add_f16_e32 v37, v9, v14
	v_sub_f16_e32 v9, v8, v9
	v_sub_f16_e32 v40, v16, v10
	v_mul_f16_e32 v38, 0xb846, v38
	v_add_f16_e32 v42, v34, v12
	v_fma_f16 v34, v15, s6, v36
	v_add_f16_e32 v39, v16, v10
	v_sub_f16_e32 v16, v18, v16
	v_add_f16_e32 v37, v37, v8
	v_mul_f16_e32 v40, 0xb846, v40
	v_add_f16_e32 v43, v34, v17
	v_fma_f16 v34, v9, s3, v38
	v_add_f16_e32 v39, v39, v18
	v_fma_f16 v44, v37, s0, v34
	v_fma_f16 v34, v16, s3, v40
	;; [unrolled: 1-line block ×3, first 2 shown]
	v_add_f16_e32 v34, v45, v42
	v_sub_f16_e32 v46, v43, v44
	v_pack_b32_f16 v46, v34, v46
	v_lshl_add_u32 v34, v11, 2, v35
	s_waitcnt lgkmcnt(0)
	; wave barrier
	ds_write2_b32 v34, v7, v46 offset1:7
	v_sub_f16_e32 v7, v22, v20
	v_sub_f16_e32 v11, v19, v21
	;; [unrolled: 1-line block ×3, first 2 shown]
	v_mul_f16_e32 v13, 0x2b26, v13
	v_mul_f16_e32 v14, 0x2b26, v15
	v_sub_f16_e32 v10, v10, v18
	v_fma_f16 v13, v7, s2, -v13
	v_fma_f16 v14, v11, s2, -v14
	;; [unrolled: 1-line block ×3, first 2 shown]
	v_mul_f16_e32 v8, 0x3b00, v8
	s_mov_b32 s2, 0xb574
	s_mov_b32 s3, 0xb9e0
	v_fma_f16 v8, v9, s2, -v8
	v_fma_f16 v9, v10, s1, -v40
	v_mul_f16_e32 v10, 0x3b00, v10
	v_fma_f16 v7, v7, s3, -v41
	v_fma_f16 v11, v11, s3, -v36
	;; [unrolled: 1-line block ×3, first 2 shown]
	v_add_f16_e32 v7, v7, v12
	v_add_f16_e32 v11, v11, v17
	v_fma_f16 v8, v37, s0, v8
	v_fma_f16 v10, v39, s0, v10
	v_add_f16_e32 v13, v13, v12
	v_add_f16_e32 v12, v14, v17
	v_fma_f16 v14, v37, s0, v15
	v_fma_f16 v9, v39, s0, v9
	v_add_f16_e32 v15, v10, v7
	v_sub_f16_e32 v16, v11, v8
	v_pack_b32_f16 v15, v15, v16
	v_sub_f16_e32 v16, v13, v9
	v_add_f16_e32 v17, v14, v12
	v_add_f16_e32 v9, v9, v13
	v_sub_f16_e32 v12, v12, v14
	v_sub_f16_e32 v7, v7, v10
	v_add_f16_e32 v8, v8, v11
	v_add_f16_e32 v36, v44, v43
	v_sub_f16_e32 v13, v42, v45
	v_pack_b32_f16 v16, v16, v17
	v_pack_b32_f16 v9, v9, v12
	;; [unrolled: 1-line block ×4, first 2 shown]
	ds_write2_b32 v34, v15, v16 offset0:14 offset1:21
	ds_write2_b32 v34, v9, v7 offset0:28 offset1:35
	ds_write_b32 v34, v8 offset:168
	s_waitcnt lgkmcnt(0)
	; wave barrier
	s_waitcnt lgkmcnt(0)
	ds_read2_b32 v[17:18], v24 offset1:21
	ds_read2_b32 v[21:22], v24 offset0:49 offset1:70
	ds_read2_b32 v[19:20], v24 offset0:98 offset1:119
	v_mov_b32_e32 v7, s13
	v_add_co_u32_e32 v15, vcc, s12, v32
	v_addc_co_u32_e32 v16, vcc, 0, v7, vcc
	v_cmp_gt_u16_e32 vcc, 7, v30
                                        ; implicit-def: $vgpr38
                                        ; implicit-def: $vgpr37
                                        ; implicit-def: $vgpr39
	s_and_saveexec_b64 s[0:1], vcc
	s_cbranch_execz .LBB0_3
; %bb.2:
	ds_read2_b32 v[13:14], v24 offset0:42 offset1:91
	ds_read_b32 v37, v24 offset:560
	s_waitcnt lgkmcnt(1)
	v_lshrrev_b32_e32 v36, 16, v13
	v_lshrrev_b32_e32 v38, 16, v14
	s_waitcnt lgkmcnt(0)
	v_lshrrev_b32_e32 v39, 16, v37
.LBB0_3:
	s_or_b64 exec, exec, s[0:1]
	v_lshlrev_b32_e32 v7, 3, v30
	global_load_dwordx2 v[9:10], v7, s[14:15] offset:168
	v_add_u32_e32 v7, 0xa8, v7
	global_load_dwordx2 v[11:12], v7, s[14:15] offset:168
	v_add_co_u32_e64 v7, s[0:1], 42, v30
	v_add_co_u32_e64 v8, s[2:3], -7, v30
	v_addc_co_u32_e64 v41, s[0:1], 0, 0, s[0:1]
	v_addc_co_u32_e64 v42, s[0:1], 0, -1, s[2:3]
	v_cndmask_b32_e32 v7, v8, v7, vcc
	v_cndmask_b32_e32 v8, v42, v41, vcc
	v_lshlrev_b64 v[7:8], 3, v[7:8]
	v_mov_b32_e32 v40, s15
	v_add_co_u32_e64 v7, s[0:1], s14, v7
	v_addc_co_u32_e64 v8, s[0:1], v40, v8, s[0:1]
	global_load_dwordx2 v[7:8], v[7:8], off offset:168
	s_waitcnt lgkmcnt(1)
	v_lshrrev_b32_e32 v41, 16, v21
	s_waitcnt lgkmcnt(0)
	v_lshrrev_b32_e32 v42, 16, v19
	v_lshrrev_b32_e32 v44, 16, v22
	;; [unrolled: 1-line block ×5, first 2 shown]
	s_movk_i32 s0, 0x3aee
	s_mov_b32 s1, 0xbaee
	s_waitcnt vmcnt(2)
	v_mul_f16_sdwa v46, v41, v9 dst_sel:DWORD dst_unused:UNUSED_PAD src0_sel:DWORD src1_sel:WORD_1
	v_mul_f16_sdwa v47, v21, v9 dst_sel:DWORD dst_unused:UNUSED_PAD src0_sel:DWORD src1_sel:WORD_1
	;; [unrolled: 1-line block ×4, first 2 shown]
	v_fma_f16 v21, v21, v9, -v46
	v_fma_f16 v41, v41, v9, v47
	v_fma_f16 v19, v19, v10, -v48
	v_fma_f16 v42, v42, v10, v49
	s_waitcnt vmcnt(1)
	v_mul_f16_sdwa v46, v44, v11 dst_sel:DWORD dst_unused:UNUSED_PAD src0_sel:DWORD src1_sel:WORD_1
	v_mul_f16_sdwa v47, v22, v11 dst_sel:DWORD dst_unused:UNUSED_PAD src0_sel:DWORD src1_sel:WORD_1
	;; [unrolled: 1-line block ×4, first 2 shown]
	v_fma_f16 v22, v22, v11, -v46
	v_fma_f16 v44, v44, v11, v47
	v_fma_f16 v20, v20, v12, -v48
	v_fma_f16 v45, v45, v12, v49
	v_add_f16_e32 v46, v17, v21
	v_add_f16_e32 v47, v21, v19
	;; [unrolled: 1-line block ×3, first 2 shown]
	v_sub_f16_e32 v48, v41, v42
	v_add_f16_e32 v41, v41, v42
	v_sub_f16_e32 v21, v21, v19
	v_add_f16_e32 v19, v46, v19
	v_fma_f16 v17, v47, -0.5, v17
	v_add_f16_e32 v42, v49, v42
	v_add_f16_e32 v46, v22, v20
	v_sub_f16_e32 v47, v44, v45
	v_add_f16_e32 v49, v43, v44
	v_add_f16_e32 v44, v44, v45
	v_fma_f16 v40, v41, -0.5, v40
	v_add_f16_e32 v41, v18, v22
	v_sub_f16_e32 v22, v22, v20
	v_fma_f16 v50, v48, s0, v17
	v_fma_f16 v48, v48, s1, v17
	v_fma_f16 v17, v46, -0.5, v18
	v_fma_f16 v18, v44, -0.5, v43
	v_add_f16_e32 v41, v41, v20
	v_pack_b32_f16 v42, v19, v42
	v_fma_f16 v43, v47, s0, v17
	v_fma_f16 v44, v47, s1, v17
	;; [unrolled: 1-line block ×4, first 2 shown]
	s_waitcnt vmcnt(0)
	v_mul_f16_sdwa v17, v38, v7 dst_sel:DWORD dst_unused:UNUSED_PAD src0_sel:DWORD src1_sel:WORD_1
	v_mul_f16_sdwa v18, v14, v7 dst_sel:DWORD dst_unused:UNUSED_PAD src0_sel:DWORD src1_sel:WORD_1
	v_mul_f16_sdwa v19, v39, v8 dst_sel:DWORD dst_unused:UNUSED_PAD src0_sel:DWORD src1_sel:WORD_1
	v_mul_f16_sdwa v20, v37, v8 dst_sel:DWORD dst_unused:UNUSED_PAD src0_sel:DWORD src1_sel:WORD_1
	v_fma_f16 v51, v21, s1, v40
	v_fma_f16 v40, v21, s0, v40
	v_fma_f16 v21, v14, v7, -v17
	v_fma_f16 v38, v38, v7, v18
	v_fma_f16 v22, v37, v8, -v19
	v_fma_f16 v37, v39, v8, v20
	v_add_f16_e32 v14, v21, v22
	v_add_f16_e32 v18, v38, v37
	v_sub_f16_e32 v17, v38, v37
	v_sub_f16_e32 v20, v21, v22
	v_fma_f16 v19, v14, -0.5, v13
	v_fma_f16 v39, v18, -0.5, v36
	v_add_f16_e32 v45, v49, v45
	v_fma_f16 v14, v17, s0, v19
	v_fma_f16 v18, v17, s1, v19
	;; [unrolled: 1-line block ×4, first 2 shown]
	v_lshl_add_u32 v17, v30, 2, v35
	v_pack_b32_f16 v35, v50, v51
	v_pack_b32_f16 v39, v48, v40
	ds_write2_b32 v17, v35, v39 offset0:49 offset1:98
	v_pack_b32_f16 v35, v41, v45
	ds_write2_b32 v24, v42, v35 offset1:21
	v_pack_b32_f16 v35, v43, v46
	v_pack_b32_f16 v39, v44, v47
	ds_write2_b32 v24, v35, v39 offset0:70 offset1:119
	s_and_saveexec_b64 s[0:1], vcc
	s_cbranch_execz .LBB0_5
; %bb.4:
	v_add_f16_e32 v35, v36, v38
	v_add_f16_e32 v13, v13, v21
	;; [unrolled: 1-line block ×4, first 2 shown]
	v_pack_b32_f16 v13, v13, v35
	s_mov_b32 s2, 0x5040100
	ds_write_b32 v24, v13 offset:168
	v_perm_b32 v13, v19, v14, s2
	v_perm_b32 v21, v20, v18, s2
	ds_write2_b32 v17, v13, v21 offset0:91 offset1:140
.LBB0_5:
	s_or_b64 exec, exec, s[0:1]
	s_waitcnt lgkmcnt(0)
	; wave barrier
	s_waitcnt lgkmcnt(0)
	global_load_dword v13, v[15:16], off offset:588
	s_add_u32 s0, s12, 0x24c
	s_addc_u32 s1, s13, 0
	global_load_dword v37, v32, s[0:1] offset:84
	global_load_dword v38, v32, s[0:1] offset:168
	;; [unrolled: 1-line block ×6, first 2 shown]
	ds_read2_b32 v[15:16], v24 offset1:21
	ds_read2_b32 v[21:22], v24 offset0:42 offset1:63
	ds_read2_b32 v[35:36], v24 offset0:84 offset1:105
	ds_read_b32 v32, v24 offset:504
	s_movk_i32 s3, 0x3a52
	s_waitcnt lgkmcnt(3)
	v_lshrrev_b32_e32 v43, 16, v15
	v_lshrrev_b32_e32 v44, 16, v16
	s_waitcnt lgkmcnt(2)
	v_lshrrev_b32_e32 v45, 16, v21
	v_lshrrev_b32_e32 v46, 16, v22
	;; [unrolled: 3-line block ×3, first 2 shown]
	s_waitcnt lgkmcnt(0)
	v_lshrrev_b32_e32 v49, 16, v32
	s_movk_i32 s2, 0x39e0
	s_mov_b32 s1, 0xbb00
	s_mov_b32 s0, 0xb574
	;; [unrolled: 1-line block ×3, first 2 shown]
	s_movk_i32 s7, 0x2b26
	s_movk_i32 s12, 0x3846
	s_mov_b32 s13, 0xffff
	s_waitcnt vmcnt(3)
	v_mul_f16_sdwa v52, v46, v39 dst_sel:DWORD dst_unused:UNUSED_PAD src0_sel:DWORD src1_sel:WORD_1
	v_mul_f16_sdwa v50, v43, v13 dst_sel:DWORD dst_unused:UNUSED_PAD src0_sel:DWORD src1_sel:WORD_1
	;; [unrolled: 1-line block ×3, first 2 shown]
	v_fma_f16 v15, v15, v13, -v50
	v_fma_f16 v13, v43, v13, v51
	v_pack_b32_f16 v13, v15, v13
	v_mul_f16_sdwa v15, v44, v37 dst_sel:DWORD dst_unused:UNUSED_PAD src0_sel:DWORD src1_sel:WORD_1
	v_mul_f16_sdwa v43, v16, v37 dst_sel:DWORD dst_unused:UNUSED_PAD src0_sel:DWORD src1_sel:WORD_1
	;; [unrolled: 1-line block ×5, first 2 shown]
	s_waitcnt vmcnt(2)
	v_mul_f16_sdwa v54, v47, v40 dst_sel:DWORD dst_unused:UNUSED_PAD src0_sel:DWORD src1_sel:WORD_1
	v_mul_f16_sdwa v55, v35, v40 dst_sel:DWORD dst_unused:UNUSED_PAD src0_sel:DWORD src1_sel:WORD_1
	s_waitcnt vmcnt(1)
	v_mul_f16_sdwa v56, v48, v41 dst_sel:DWORD dst_unused:UNUSED_PAD src0_sel:DWORD src1_sel:WORD_1
	v_mul_f16_sdwa v57, v36, v41 dst_sel:DWORD dst_unused:UNUSED_PAD src0_sel:DWORD src1_sel:WORD_1
	;; [unrolled: 3-line block ×3, first 2 shown]
	v_fma_f16 v15, v16, v37, -v15
	v_fma_f16 v16, v44, v37, v43
	v_fma_f16 v21, v21, v38, -v50
	v_fma_f16 v37, v45, v38, v51
	;; [unrolled: 2-line block ×6, first 2 shown]
	v_pack_b32_f16 v15, v15, v16
	v_pack_b32_f16 v16, v21, v37
	;; [unrolled: 1-line block ×6, first 2 shown]
	ds_write2_b32 v24, v13, v15 offset1:21
	ds_write2_b32 v24, v16, v21 offset0:42 offset1:63
	ds_write2_b32 v24, v22, v35 offset0:84 offset1:105
	ds_write_b32 v24, v32 offset:504
	s_waitcnt lgkmcnt(0)
	; wave barrier
	s_waitcnt lgkmcnt(0)
	ds_read2_b32 v[15:16], v24 offset1:21
	ds_read2_b32 v[21:22], v24 offset0:42 offset1:63
	ds_read_b32 v13, v24 offset:504
	ds_read2_b32 v[35:36], v24 offset0:84 offset1:105
	s_waitcnt lgkmcnt(0)
	; wave barrier
	s_waitcnt lgkmcnt(0)
	v_pk_add_f16 v32, v16, v13
	v_pk_add_f16 v37, v21, v36
	;; [unrolled: 1-line block ×3, first 2 shown]
	v_pk_add_f16 v13, v16, v13 neg_lo:[0,1] neg_hi:[0,1]
	v_pk_add_f16 v16, v21, v36 neg_lo:[0,1] neg_hi:[0,1]
	;; [unrolled: 1-line block ×3, first 2 shown]
	v_pk_add_f16 v22, v37, v32
	v_pk_add_f16 v35, v37, v32 neg_lo:[0,1] neg_hi:[0,1]
	v_pk_add_f16 v32, v32, v38 neg_lo:[0,1] neg_hi:[0,1]
	;; [unrolled: 1-line block ×3, first 2 shown]
	v_pk_add_f16 v22, v38, v22
	v_pk_add_f16 v36, v21, v16
	v_pk_add_f16 v39, v13, v21 neg_lo:[0,1] neg_hi:[0,1]
	v_pk_mul_f16 v32, v32, s3 op_sel_hi:[1,0]
	v_pk_mul_f16 v35, v35, s2 op_sel_hi:[1,0]
	v_pk_mul_f16 v40, v40, s1 op_sel_hi:[1,0]
	v_pk_add_f16 v15, v15, v22
	v_pk_add_f16 v37, v38, v37 neg_lo:[0,1] neg_hi:[0,1]
	v_pk_add_f16 v16, v21, v16 neg_lo:[0,1] neg_hi:[0,1]
	v_pk_add_f16 v13, v36, v13
	v_pk_mul_f16 v36, v39, s0 op_sel_hi:[1,0]
	v_pk_add_f16 v41, v32, v35 op_sel:[1,1] op_sel_hi:[0,0] neg_lo:[1,1] neg_hi:[1,1]
	v_pk_fma_f16 v22, v22, s6, v15 op_sel_hi:[1,0,1]
	v_pk_fma_f16 v39, v39, s0, v40 op_sel_hi:[1,0,1] neg_lo:[1,0,1] neg_hi:[1,0,1]
	s_mov_b32 s3, 0xb70e
	v_pk_fma_f16 v21, v37, s7, v35 op_sel_hi:[1,0,1] neg_lo:[1,0,0] neg_hi:[1,0,0]
	v_pk_fma_f16 v35, v16, s12, v40 op_sel_hi:[1,0,1] neg_lo:[1,0,0] neg_hi:[1,0,0]
	v_pk_add_f16 v41, v41, v22 op_sel:[0,1] op_sel_hi:[1,0]
	v_pk_fma_f16 v39, v13, s3, v39 op_sel_hi:[1,0,1]
	v_pk_add_f16 v21, v21, v22
	v_pk_fma_f16 v35, v13, s3, v35 op_sel_hi:[1,0,1]
	v_pk_add_f16 v42, v41, v39
	v_pk_add_f16 v39, v41, v39 neg_lo:[0,1] neg_hi:[0,1]
	v_pk_add_f16 v38, v21, v35 op_sel:[0,1] op_sel_hi:[1,0] neg_lo:[0,1] neg_hi:[0,1]
	v_pk_add_f16 v21, v21, v35 op_sel:[0,1] op_sel_hi:[1,0]
	v_alignbit_b32 v41, v39, v42, 16
	v_bfi_b32 v35, s13, v38, v21
	ds_write2_b32 v33, v41, v35 offset0:2 offset1:3
	v_bfi_b32 v21, s13, v21, v38
	v_alignbit_b32 v35, v42, v39, 16
	ds_write2_b32 v33, v21, v35 offset0:4 offset1:5
	v_pk_fma_f16 v21, v37, s7, v32 op_sel_hi:[1,0,1]
	v_pk_fma_f16 v16, v16, s12, v36 op_sel_hi:[1,0,1]
	v_pk_add_f16 v21, v21, v22
	v_pk_fma_f16 v13, v13, s3, v16 op_sel_hi:[1,0,1]
	v_pk_add_f16 v16, v21, v13 op_sel:[0,1] op_sel_hi:[1,0]
	v_pk_add_f16 v13, v21, v13 op_sel:[0,1] op_sel_hi:[1,0] neg_lo:[0,1] neg_hi:[0,1]
	v_bfi_b32 v21, s13, v13, v16
	v_bfi_b32 v13, s13, v16, v13
	ds_write2_b32 v33, v15, v13 offset1:1
	ds_write_b32 v33, v21 offset:24
	s_waitcnt lgkmcnt(0)
	; wave barrier
	s_waitcnt lgkmcnt(0)
	ds_read2_b32 v[15:16], v24 offset1:21
	ds_read2_b32 v[21:22], v24 offset0:42 offset1:63
	ds_read2_b32 v[32:33], v24 offset0:84 offset1:105
	ds_read_b32 v35, v24 offset:504
	s_waitcnt lgkmcnt(0)
	v_lshrrev_b32_e32 v13, 16, v16
	v_mul_f16_sdwa v41, v0, v13 dst_sel:DWORD dst_unused:UNUSED_PAD src0_sel:WORD_1 src1_sel:DWORD
	v_lshrrev_b32_e32 v36, 16, v21
	v_fma_f16 v41, v0, v16, v41
	v_mul_f16_sdwa v16, v0, v16 dst_sel:DWORD dst_unused:UNUSED_PAD src0_sel:WORD_1 src1_sel:DWORD
	v_lshrrev_b32_e32 v37, 16, v22
	v_fma_f16 v0, v0, v13, -v16
	v_mul_f16_sdwa v13, v1, v36 dst_sel:DWORD dst_unused:UNUSED_PAD src0_sel:WORD_1 src1_sel:DWORD
	v_mul_f16_sdwa v16, v1, v21 dst_sel:DWORD dst_unused:UNUSED_PAD src0_sel:WORD_1 src1_sel:DWORD
	v_lshrrev_b32_e32 v38, 16, v32
	v_fma_f16 v13, v1, v21, v13
	v_fma_f16 v1, v1, v36, -v16
	v_mul_f16_sdwa v16, v2, v37 dst_sel:DWORD dst_unused:UNUSED_PAD src0_sel:WORD_1 src1_sel:DWORD
	v_mul_f16_sdwa v21, v2, v22 dst_sel:DWORD dst_unused:UNUSED_PAD src0_sel:WORD_1 src1_sel:DWORD
	v_lshrrev_b32_e32 v39, 16, v33
	v_fma_f16 v16, v2, v22, v16
	;; [unrolled: 5-line block ×3, first 2 shown]
	v_fma_f16 v3, v3, v38, -v22
	v_mul_f16_sdwa v22, v5, v39 dst_sel:DWORD dst_unused:UNUSED_PAD src0_sel:WORD_1 src1_sel:DWORD
	v_mul_f16_sdwa v32, v5, v33 dst_sel:DWORD dst_unused:UNUSED_PAD src0_sel:WORD_1 src1_sel:DWORD
	v_fma_f16 v22, v5, v33, v22
	v_fma_f16 v5, v5, v39, -v32
	v_mul_f16_sdwa v32, v6, v40 dst_sel:DWORD dst_unused:UNUSED_PAD src0_sel:WORD_1 src1_sel:DWORD
	v_mul_f16_sdwa v33, v6, v35 dst_sel:DWORD dst_unused:UNUSED_PAD src0_sel:WORD_1 src1_sel:DWORD
	v_fma_f16 v32, v6, v35, v32
	v_fma_f16 v6, v6, v40, -v33
	v_add_f16_e32 v33, v41, v32
	v_add_f16_e32 v35, v0, v6
	v_sub_f16_e32 v0, v0, v6
	v_add_f16_e32 v6, v13, v22
	v_add_f16_e32 v36, v1, v5
	v_sub_f16_e32 v13, v13, v22
	v_sub_f16_e32 v1, v1, v5
	v_add_f16_e32 v5, v16, v21
	v_add_f16_e32 v22, v2, v3
	v_sub_f16_e32 v16, v21, v16
	;; [unrolled: 4-line block ×3, first 2 shown]
	v_sub_f16_e32 v37, v6, v33
	v_sub_f16_e32 v38, v36, v35
	;; [unrolled: 1-line block ×6, first 2 shown]
	v_add_f16_e32 v39, v16, v13
	v_add_f16_e32 v3, v5, v3
	;; [unrolled: 1-line block ×4, first 2 shown]
	v_sub_f16_e32 v41, v16, v13
	v_sub_f16_e32 v42, v2, v1
	;; [unrolled: 1-line block ×4, first 2 shown]
	v_add_f16_e32 v21, v39, v32
	v_add_f16_e32 v22, v15, v3
	v_add_f16_sdwa v32, v15, v5 dst_sel:DWORD dst_unused:UNUSED_PAD src0_sel:WORD_1 src1_sel:DWORD
	v_mul_f16_e32 v15, 0x3a52, v33
	v_mul_f16_e32 v33, 0x3a52, v35
	;; [unrolled: 1-line block ×4, first 2 shown]
	v_sub_f16_e32 v2, v0, v2
	v_sub_f16_e32 v1, v1, v0
	v_add_f16_e32 v0, v40, v0
	v_mul_f16_e32 v40, 0x3846, v41
	v_mul_f16_e32 v41, 0x3846, v42
	v_fma_f16 v35, v37, s2, -v35
	v_fma_f16 v39, v38, s2, -v39
	s_mov_b32 s2, 0xb9e0
	v_mul_f16_e32 v42, 0xbb00, v13
	v_mul_f16_e32 v43, 0xbb00, v1
	v_fma_f16 v6, v6, s7, v15
	v_fma_f16 v36, v36, s7, v33
	v_fma_f16 v15, v37, s2, -v15
	v_fma_f16 v33, v38, s2, -v33
	v_fma_f16 v37, v16, s0, v40
	v_fma_f16 v38, v2, s0, v41
	s_movk_i32 s0, 0x3574
	v_fma_f16 v3, v3, s6, v22
	v_fma_f16 v5, v5, s6, v32
	v_fma_f16 v13, v13, s1, -v40
	v_fma_f16 v1, v1, s1, -v41
	;; [unrolled: 1-line block ×4, first 2 shown]
	v_add_f16_e32 v6, v6, v3
	v_add_f16_e32 v36, v36, v5
	;; [unrolled: 1-line block ×6, first 2 shown]
	v_fma_f16 v15, v21, s3, v37
	v_fma_f16 v33, v0, s3, v38
	;; [unrolled: 1-line block ×6, first 2 shown]
	v_add_f16_e32 v2, v33, v6
	v_sub_f16_e32 v21, v36, v15
	v_add_f16_e32 v37, v0, v3
	v_sub_f16_e32 v40, v35, v1
	;; [unrolled: 2-line block ×3, first 2 shown]
	v_sub_f16_e32 v0, v3, v0
	v_add_f16_e32 v3, v16, v5
	v_sub_f16_e32 v38, v5, v16
	v_add_f16_e32 v41, v13, v39
	;; [unrolled: 2-line block ×3, first 2 shown]
	v_pack_b32_f16 v5, v22, v32
	v_pack_b32_f16 v2, v2, v21
	v_pack_b32_f16 v1, v1, v35
	v_pack_b32_f16 v0, v0, v3
	; wave barrier
	ds_write2_b32 v34, v5, v2 offset1:7
	v_pack_b32_f16 v2, v37, v38
	v_pack_b32_f16 v5, v40, v41
	ds_write2_b32 v34, v1, v0 offset0:28 offset1:35
	v_pack_b32_f16 v0, v13, v15
	ds_write2_b32 v34, v2, v5 offset0:14 offset1:21
	ds_write_b32 v34, v0 offset:168
	s_waitcnt lgkmcnt(0)
	; wave barrier
	s_waitcnt lgkmcnt(0)
	ds_read2_b32 v[0:1], v24 offset1:21
	ds_read2_b32 v[5:6], v24 offset0:49 offset1:70
	ds_read2_b32 v[2:3], v24 offset0:98 offset1:119
	v_add_u32_e32 v16, 0x54, v24
	s_and_saveexec_b64 s[0:1], vcc
	s_cbranch_execz .LBB0_7
; %bb.6:
	ds_read2_b32 v[13:14], v24 offset0:42 offset1:91
	ds_read_b32 v18, v24 offset:560
	s_waitcnt lgkmcnt(1)
	v_lshrrev_b32_e32 v15, 16, v13
	v_lshrrev_b32_e32 v19, 16, v14
	s_waitcnt lgkmcnt(0)
	v_lshrrev_b32_e32 v20, 16, v18
.LBB0_7:
	s_or_b64 exec, exec, s[0:1]
	s_waitcnt lgkmcnt(1)
	v_lshrrev_b32_e32 v22, 16, v5
	v_mul_f16_sdwa v36, v9, v22 dst_sel:DWORD dst_unused:UNUSED_PAD src0_sel:WORD_1 src1_sel:DWORD
	s_waitcnt lgkmcnt(0)
	v_lshrrev_b32_e32 v32, 16, v2
	v_fma_f16 v36, v9, v5, v36
	v_mul_f16_sdwa v5, v9, v5 dst_sel:DWORD dst_unused:UNUSED_PAD src0_sel:WORD_1 src1_sel:DWORD
	v_fma_f16 v5, v9, v22, -v5
	v_mul_f16_sdwa v9, v10, v32 dst_sel:DWORD dst_unused:UNUSED_PAD src0_sel:WORD_1 src1_sel:DWORD
	v_lshrrev_b32_e32 v34, 16, v6
	v_fma_f16 v9, v10, v2, v9
	v_mul_f16_sdwa v2, v10, v2 dst_sel:DWORD dst_unused:UNUSED_PAD src0_sel:WORD_1 src1_sel:DWORD
	v_fma_f16 v2, v10, v32, -v2
	v_mul_f16_sdwa v10, v11, v34 dst_sel:DWORD dst_unused:UNUSED_PAD src0_sel:WORD_1 src1_sel:DWORD
	;; [unrolled: 5-line block ×3, first 2 shown]
	v_fma_f16 v11, v12, v3, v11
	v_mul_f16_sdwa v3, v12, v3 dst_sel:DWORD dst_unused:UNUSED_PAD src0_sel:WORD_1 src1_sel:DWORD
	v_add_f16_e32 v22, v36, v9
	v_lshrrev_b32_e32 v21, 16, v0
	v_fma_f16 v3, v12, v35, -v3
	v_add_f16_e32 v12, v0, v36
	v_fma_f16 v0, v22, -0.5, v0
	v_sub_f16_e32 v22, v5, v2
	s_mov_b32 s2, 0xbaee
	s_movk_i32 s3, 0x3aee
	v_fma_f16 v32, v22, s2, v0
	v_fma_f16 v0, v22, s3, v0
	v_add_f16_e32 v22, v21, v5
	v_add_f16_e32 v22, v22, v2
	;; [unrolled: 1-line block ×3, first 2 shown]
	v_fma_f16 v2, v2, -0.5, v21
	v_sub_f16_e32 v5, v36, v9
	v_add_f16_e32 v21, v10, v11
	v_lshrrev_b32_e32 v33, 16, v1
	v_add_f16_e32 v12, v12, v9
	v_fma_f16 v9, v5, s3, v2
	v_fma_f16 v2, v5, s2, v2
	v_add_f16_e32 v5, v1, v10
	v_fma_f16 v1, v21, -0.5, v1
	v_sub_f16_e32 v21, v6, v3
	v_fma_f16 v34, v21, s2, v1
	v_fma_f16 v1, v21, s3, v1
	v_add_f16_e32 v21, v33, v6
	v_add_f16_e32 v21, v21, v3
	;; [unrolled: 1-line block ×3, first 2 shown]
	v_fma_f16 v3, v3, -0.5, v33
	v_sub_f16_e32 v6, v10, v11
	v_fma_f16 v10, v6, s3, v3
	v_fma_f16 v3, v6, s2, v3
	v_pack_b32_f16 v6, v12, v22
	v_add_f16_e32 v5, v5, v11
	ds_write_b32 v24, v6
	v_pack_b32_f16 v6, v32, v9
	v_pack_b32_f16 v0, v0, v2
	ds_write2_b32 v17, v6, v0 offset0:49 offset1:98
	v_pack_b32_f16 v0, v5, v21
	ds_write_b32 v24, v0 offset:84
	v_pack_b32_f16 v0, v34, v10
	v_pack_b32_f16 v1, v1, v3
	ds_write2_b32 v16, v0, v1 offset0:49 offset1:98
	s_and_saveexec_b64 s[0:1], vcc
	s_cbranch_execz .LBB0_9
; %bb.8:
	v_mul_f16_sdwa v0, v7, v14 dst_sel:DWORD dst_unused:UNUSED_PAD src0_sel:WORD_1 src1_sel:DWORD
	v_mul_f16_sdwa v1, v8, v18 dst_sel:DWORD dst_unused:UNUSED_PAD src0_sel:WORD_1 src1_sel:DWORD
	v_fma_f16 v0, v7, v19, -v0
	v_fma_f16 v1, v8, v20, -v1
	v_mul_f16_sdwa v3, v7, v19 dst_sel:DWORD dst_unused:UNUSED_PAD src0_sel:WORD_1 src1_sel:DWORD
	v_mul_f16_sdwa v5, v8, v20 dst_sel:DWORD dst_unused:UNUSED_PAD src0_sel:WORD_1 src1_sel:DWORD
	v_add_f16_e32 v2, v0, v1
	v_fma_f16 v3, v7, v14, v3
	v_fma_f16 v5, v8, v18, v5
	v_fma_f16 v2, v2, -0.5, v15
	v_sub_f16_e32 v6, v3, v5
	v_add_f16_e32 v8, v3, v5
	v_fma_f16 v7, v6, s2, v2
	v_fma_f16 v2, v6, s3, v2
	v_add_f16_e32 v6, v15, v0
	v_fma_f16 v8, v8, -0.5, v13
	v_sub_f16_e32 v0, v0, v1
	v_add_f16_e32 v3, v13, v3
	v_add_f16_e32 v6, v6, v1
	v_fma_f16 v1, v0, s3, v8
	v_fma_f16 v0, v0, s2, v8
	v_add_f16_e32 v3, v3, v5
	v_pack_b32_f16 v3, v3, v6
	v_pack_b32_f16 v0, v0, v2
	;; [unrolled: 1-line block ×3, first 2 shown]
	ds_write_b32 v24, v3 offset:168
	ds_write2_b32 v17, v0, v1 offset0:91 offset1:140
.LBB0_9:
	s_or_b64 exec, exec, s[0:1]
	s_waitcnt lgkmcnt(0)
	; wave barrier
	s_waitcnt lgkmcnt(0)
	ds_read2_b32 v[0:1], v24 offset1:21
	s_mov_b32 s2, 0x899406f7
	s_mov_b32 s3, 0x3f7bdd2b
	v_mad_u64_u32 v[5:6], s[0:1], s10, v4, 0
	s_waitcnt lgkmcnt(0)
	v_lshrrev_b32_e32 v8, 16, v0
	v_mul_f16_sdwa v2, v31, v8 dst_sel:DWORD dst_unused:UNUSED_PAD src0_sel:WORD_1 src1_sel:DWORD
	v_fma_f16 v2, v31, v0, v2
	v_cvt_f32_f16_e32 v2, v2
	s_movk_i32 s6, 0x1ff
	v_mad_u64_u32 v[6:7], s[0:1], s11, v4, v[6:7]
	v_cvt_f64_f32_e32 v[2:3], v2
	s_movk_i32 s7, 0xffe
	v_mul_f16_sdwa v0, v31, v0 dst_sel:DWORD dst_unused:UNUSED_PAD src0_sel:WORD_1 src1_sel:DWORD
	v_fma_f16 v0, v31, v8, -v0
	v_mul_f64 v[2:3], v[2:3], s[2:3]
	s_movk_i32 s10, 0x40f
	s_mov_b32 s11, 0x8000
	v_and_or_b32 v2, v3, s6, v2
	v_cmp_ne_u32_e32 vcc, 0, v2
	v_lshrrev_b32_e32 v4, 8, v3
	v_bfe_u32 v7, v3, 20, 11
	v_cndmask_b32_e64 v2, 0, 1, vcc
	v_sub_u32_e32 v9, 0x3f1, v7
	v_and_or_b32 v2, v4, s7, v2
	v_med3_i32 v4, v9, 0, 13
	v_or_b32_e32 v9, 0x1000, v2
	v_lshrrev_b32_e32 v10, v4, v9
	v_lshlrev_b32_e32 v4, v4, v10
	v_cmp_ne_u32_e32 vcc, v4, v9
	v_cndmask_b32_e64 v4, 0, 1, vcc
	v_add_u32_e32 v9, 0xfffffc10, v7
	v_or_b32_e32 v4, v10, v4
	v_lshl_or_b32 v7, v9, 12, v2
	v_cmp_gt_i32_e32 vcc, 1, v9
	v_cndmask_b32_e32 v4, v7, v4, vcc
	v_and_b32_e32 v7, 7, v4
	v_cmp_lt_i32_e32 vcc, 5, v7
	v_cmp_eq_u32_e64 s[0:1], 3, v7
	v_cvt_f32_f16_e32 v7, v0
	v_lshrrev_b32_e32 v4, 2, v4
	s_or_b64 vcc, s[0:1], vcc
	v_addc_co_u32_e32 v4, vcc, 0, v4, vcc
	v_cvt_f64_f32_e32 v[7:8], v7
	v_mov_b32_e32 v0, 0x7c00
	v_cmp_gt_i32_e32 vcc, 31, v9
	v_cndmask_b32_e32 v4, v0, v4, vcc
	v_mul_f64 v[7:8], v[7:8], s[2:3]
	v_cmp_ne_u32_e32 vcc, 0, v2
	v_cndmask_b32_e64 v2, 0, 1, vcc
	v_lshl_or_b32 v2, v2, 9, v0
	v_cmp_eq_u32_e32 vcc, s10, v9
	v_cndmask_b32_e32 v2, v4, v2, vcc
	v_lshrrev_b32_e32 v3, 16, v3
	v_and_or_b32 v9, v3, s11, v2
	v_and_or_b32 v2, v8, s6, v7
	v_cmp_ne_u32_e32 vcc, 0, v2
	v_cndmask_b32_e64 v2, 0, 1, vcc
	v_lshrrev_b32_e32 v3, 8, v8
	v_bfe_u32 v4, v8, 20, 11
	v_and_or_b32 v2, v3, s7, v2
	v_sub_u32_e32 v7, 0x3f1, v4
	v_or_b32_e32 v3, 0x1000, v2
	v_med3_i32 v7, v7, 0, 13
	v_lshrrev_b32_e32 v10, v7, v3
	v_lshlrev_b32_e32 v7, v7, v10
	v_cmp_ne_u32_e32 vcc, v7, v3
	v_cndmask_b32_e64 v3, 0, 1, vcc
	v_add_u32_e32 v4, 0xfffffc10, v4
	v_or_b32_e32 v3, v10, v3
	v_lshl_or_b32 v7, v4, 12, v2
	v_cmp_gt_i32_e32 vcc, 1, v4
	v_cndmask_b32_e32 v3, v7, v3, vcc
	v_and_b32_e32 v7, 7, v3
	v_cmp_lt_i32_e32 vcc, 5, v7
	v_cmp_eq_u32_e64 s[0:1], 3, v7
	v_lshrrev_b32_e32 v3, 2, v3
	s_or_b64 vcc, s[0:1], vcc
	v_addc_co_u32_e32 v3, vcc, 0, v3, vcc
	v_cmp_gt_i32_e32 vcc, 31, v4
	v_cndmask_b32_e32 v7, v0, v3, vcc
	v_cmp_ne_u32_e32 vcc, 0, v2
	v_cndmask_b32_e64 v2, 0, 1, vcc
	v_lshl_or_b32 v10, v2, 9, v0
	v_mad_u64_u32 v[2:3], s[0:1], s8, v30, 0
	v_cmp_eq_u32_e32 vcc, s10, v4
	v_cndmask_b32_e32 v7, v7, v10, vcc
	v_mad_u64_u32 v[3:4], s[0:1], s9, v30, v[3:4]
	v_lshrrev_b32_e32 v10, 16, v1
	v_mul_f16_sdwa v4, v29, v10 dst_sel:DWORD dst_unused:UNUSED_PAD src0_sel:WORD_1 src1_sel:DWORD
	v_fma_f16 v4, v29, v1, v4
	v_cvt_f32_f16_e32 v4, v4
	v_lshrrev_b32_e32 v8, 16, v8
	v_and_or_b32 v11, v8, s11, v7
	v_and_b32_e32 v9, 0xffff, v9
	v_cvt_f64_f32_e32 v[7:8], v4
	v_lshlrev_b64 v[4:5], 2, v[5:6]
	v_lshl_or_b32 v9, v11, 16, v9
	v_mov_b32_e32 v11, s5
	v_mul_f64 v[6:7], v[7:8], s[2:3]
	v_add_co_u32_e32 v4, vcc, s4, v4
	v_lshlrev_b64 v[2:3], 2, v[2:3]
	v_addc_co_u32_e32 v5, vcc, v11, v5, vcc
	v_add_co_u32_e32 v2, vcc, v4, v2
	v_addc_co_u32_e32 v3, vcc, v5, v3, vcc
	v_and_or_b32 v4, v7, s6, v6
	v_cmp_ne_u32_e32 vcc, 0, v4
	v_cndmask_b32_e64 v4, 0, 1, vcc
	v_lshrrev_b32_e32 v5, 8, v7
	v_and_or_b32 v6, v5, s7, v4
	v_bfe_u32 v5, v7, 20, 11
	v_sub_u32_e32 v8, 0x3f1, v5
	v_or_b32_e32 v4, 0x1000, v6
	v_med3_i32 v8, v8, 0, 13
	global_store_dword v[2:3], v9, off
	v_lshrrev_b32_e32 v9, v8, v4
	v_lshlrev_b32_e32 v8, v8, v9
	v_mul_f16_sdwa v1, v29, v1 dst_sel:DWORD dst_unused:UNUSED_PAD src0_sel:WORD_1 src1_sel:DWORD
	v_cmp_ne_u32_e32 vcc, v8, v4
	v_fma_f16 v1, v29, v10, -v1
	v_cndmask_b32_e64 v4, 0, 1, vcc
	v_add_u32_e32 v8, 0xfffffc10, v5
	v_cvt_f32_f16_e32 v1, v1
	v_or_b32_e32 v4, v9, v4
	v_lshl_or_b32 v5, v8, 12, v6
	v_cmp_gt_i32_e32 vcc, 1, v8
	v_cndmask_b32_e32 v4, v5, v4, vcc
	v_and_b32_e32 v5, 7, v4
	v_cmp_lt_i32_e32 vcc, 5, v5
	v_cmp_eq_u32_e64 s[0:1], 3, v5
	v_lshrrev_b32_e32 v9, 2, v4
	v_cvt_f64_f32_e32 v[4:5], v1
	s_or_b64 vcc, s[0:1], vcc
	v_addc_co_u32_e32 v1, vcc, 0, v9, vcc
	v_mul_f64 v[4:5], v[4:5], s[2:3]
	v_cmp_gt_i32_e32 vcc, 31, v8
	v_cndmask_b32_e32 v1, v0, v1, vcc
	v_cmp_ne_u32_e32 vcc, 0, v6
	v_cndmask_b32_e64 v6, 0, 1, vcc
	v_lshl_or_b32 v6, v6, 9, v0
	v_cmp_eq_u32_e32 vcc, s10, v8
	v_cndmask_b32_e32 v1, v1, v6, vcc
	v_and_or_b32 v4, v5, s6, v4
	v_lshrrev_b32_e32 v6, 16, v7
	v_cmp_ne_u32_e32 vcc, 0, v4
	v_and_or_b32 v1, v6, s11, v1
	v_cndmask_b32_e64 v4, 0, 1, vcc
	v_lshrrev_b32_e32 v6, 8, v5
	v_bfe_u32 v7, v5, 20, 11
	v_and_or_b32 v4, v6, s7, v4
	v_sub_u32_e32 v8, 0x3f1, v7
	v_or_b32_e32 v6, 0x1000, v4
	v_med3_i32 v8, v8, 0, 13
	v_lshrrev_b32_e32 v9, v8, v6
	v_lshlrev_b32_e32 v8, v8, v9
	v_cmp_ne_u32_e32 vcc, v8, v6
	v_cndmask_b32_e64 v6, 0, 1, vcc
	v_add_u32_e32 v8, 0xfffffc10, v7
	v_or_b32_e32 v6, v9, v6
	v_lshl_or_b32 v7, v8, 12, v4
	v_cmp_gt_i32_e32 vcc, 1, v8
	v_cndmask_b32_e32 v6, v7, v6, vcc
	v_and_b32_e32 v7, 7, v6
	v_cmp_lt_i32_e32 vcc, 5, v7
	v_cmp_eq_u32_e64 s[0:1], 3, v7
	v_lshrrev_b32_e32 v6, 2, v6
	s_or_b64 vcc, s[0:1], vcc
	v_addc_co_u32_e32 v6, vcc, 0, v6, vcc
	v_cmp_gt_i32_e32 vcc, 31, v8
	v_cndmask_b32_e32 v9, v0, v6, vcc
	ds_read2_b32 v[6:7], v24 offset0:42 offset1:63
	v_cmp_ne_u32_e32 vcc, 0, v4
	v_cndmask_b32_e64 v4, 0, 1, vcc
	v_lshl_or_b32 v4, v4, 9, v0
	v_cmp_eq_u32_e32 vcc, s10, v8
	s_waitcnt lgkmcnt(0)
	v_lshrrev_b32_e32 v8, 16, v6
	v_cndmask_b32_e32 v4, v9, v4, vcc
	v_mul_f16_sdwa v9, v28, v8 dst_sel:DWORD dst_unused:UNUSED_PAD src0_sel:WORD_1 src1_sel:DWORD
	v_fma_f16 v9, v28, v6, v9
	v_cvt_f32_f16_e32 v9, v9
	v_lshrrev_b32_e32 v5, 16, v5
	v_and_or_b32 v4, v5, s11, v4
	v_and_b32_e32 v1, 0xffff, v1
	v_lshl_or_b32 v10, v4, 16, v1
	v_cvt_f64_f32_e32 v[4:5], v9
	s_mul_i32 s0, s9, 0x54
	s_mul_hi_u32 s4, s8, 0x54
	s_add_i32 s4, s4, s0
	v_mul_f64 v[4:5], v[4:5], s[2:3]
	s_mul_i32 s5, s8, 0x54
	v_mov_b32_e32 v9, s4
	v_add_co_u32_e32 v1, vcc, s5, v2
	v_addc_co_u32_e32 v2, vcc, v3, v9, vcc
	global_store_dword v[1:2], v10, off
	v_and_or_b32 v3, v5, s6, v4
	v_cmp_ne_u32_e32 vcc, 0, v3
	v_cndmask_b32_e64 v3, 0, 1, vcc
	v_lshrrev_b32_e32 v4, 8, v5
	v_and_or_b32 v9, v4, s7, v3
	v_bfe_u32 v4, v5, 20, 11
	v_sub_u32_e32 v10, 0x3f1, v4
	v_or_b32_e32 v3, 0x1000, v9
	v_med3_i32 v10, v10, 0, 13
	v_lshrrev_b32_e32 v11, v10, v3
	v_lshlrev_b32_e32 v10, v10, v11
	v_mul_f16_sdwa v6, v28, v6 dst_sel:DWORD dst_unused:UNUSED_PAD src0_sel:WORD_1 src1_sel:DWORD
	v_cmp_ne_u32_e32 vcc, v10, v3
	v_fma_f16 v6, v28, v8, -v6
	v_cndmask_b32_e64 v3, 0, 1, vcc
	v_add_u32_e32 v10, 0xfffffc10, v4
	v_cvt_f32_f16_e32 v6, v6
	v_or_b32_e32 v3, v11, v3
	v_lshl_or_b32 v4, v10, 12, v9
	v_cmp_gt_i32_e32 vcc, 1, v10
	v_cndmask_b32_e32 v3, v4, v3, vcc
	v_and_b32_e32 v4, 7, v3
	v_cmp_lt_i32_e32 vcc, 5, v4
	v_cmp_eq_u32_e64 s[0:1], 3, v4
	v_lshrrev_b32_e32 v8, 2, v3
	v_cvt_f64_f32_e32 v[3:4], v6
	s_or_b64 vcc, s[0:1], vcc
	v_addc_co_u32_e32 v6, vcc, 0, v8, vcc
	v_mul_f64 v[3:4], v[3:4], s[2:3]
	v_cmp_gt_i32_e32 vcc, 31, v10
	v_cndmask_b32_e32 v6, v0, v6, vcc
	v_cmp_ne_u32_e32 vcc, 0, v9
	v_cndmask_b32_e64 v8, 0, 1, vcc
	v_lshl_or_b32 v8, v8, 9, v0
	v_cmp_eq_u32_e32 vcc, s10, v10
	v_cndmask_b32_e32 v6, v6, v8, vcc
	v_and_or_b32 v3, v4, s6, v3
	v_lshrrev_b32_e32 v5, 16, v5
	v_cmp_ne_u32_e32 vcc, 0, v3
	v_and_or_b32 v8, v5, s11, v6
	v_cndmask_b32_e64 v3, 0, 1, vcc
	v_lshrrev_b32_e32 v5, 8, v4
	v_bfe_u32 v6, v4, 20, 11
	v_and_or_b32 v3, v5, s7, v3
	v_sub_u32_e32 v9, 0x3f1, v6
	v_or_b32_e32 v5, 0x1000, v3
	v_med3_i32 v9, v9, 0, 13
	v_lshrrev_b32_e32 v10, v9, v5
	v_lshlrev_b32_e32 v9, v9, v10
	v_cmp_ne_u32_e32 vcc, v9, v5
	v_cndmask_b32_e64 v5, 0, 1, vcc
	v_add_u32_e32 v6, 0xfffffc10, v6
	v_or_b32_e32 v5, v10, v5
	v_lshl_or_b32 v9, v6, 12, v3
	v_cmp_gt_i32_e32 vcc, 1, v6
	v_cndmask_b32_e32 v5, v9, v5, vcc
	v_and_b32_e32 v9, 7, v5
	v_cmp_lt_i32_e32 vcc, 5, v9
	v_cmp_eq_u32_e64 s[0:1], 3, v9
	v_lshrrev_b32_e32 v9, 16, v7
	v_lshrrev_b32_e32 v5, 2, v5
	s_or_b64 vcc, s[0:1], vcc
	v_mul_f16_sdwa v10, v27, v9 dst_sel:DWORD dst_unused:UNUSED_PAD src0_sel:WORD_1 src1_sel:DWORD
	v_addc_co_u32_e32 v5, vcc, 0, v5, vcc
	v_fma_f16 v10, v27, v7, v10
	v_cmp_gt_i32_e32 vcc, 31, v6
	v_cvt_f32_f16_e32 v10, v10
	v_cndmask_b32_e32 v5, v0, v5, vcc
	v_cmp_ne_u32_e32 vcc, 0, v3
	v_cndmask_b32_e64 v3, 0, 1, vcc
	v_lshl_or_b32 v3, v3, 9, v0
	v_cmp_eq_u32_e32 vcc, s10, v6
	v_cndmask_b32_e32 v3, v5, v3, vcc
	v_cvt_f64_f32_e32 v[5:6], v10
	v_lshrrev_b32_e32 v4, 16, v4
	v_and_or_b32 v10, v4, s11, v3
	v_add_co_u32_e32 v1, vcc, s5, v1
	v_mul_f64 v[3:4], v[5:6], s[2:3]
	v_mov_b32_e32 v6, s4
	v_and_b32_e32 v8, 0xffff, v8
	v_addc_co_u32_e32 v2, vcc, v2, v6, vcc
	v_lshl_or_b32 v5, v10, 16, v8
	global_store_dword v[1:2], v5, off
	v_mul_f16_sdwa v7, v27, v7 dst_sel:DWORD dst_unused:UNUSED_PAD src0_sel:WORD_1 src1_sel:DWORD
	v_and_or_b32 v3, v4, s6, v3
	v_cmp_ne_u32_e32 vcc, 0, v3
	v_cndmask_b32_e64 v3, 0, 1, vcc
	v_lshrrev_b32_e32 v5, 8, v4
	v_bfe_u32 v6, v4, 20, 11
	v_and_or_b32 v3, v5, s7, v3
	v_sub_u32_e32 v8, 0x3f1, v6
	v_or_b32_e32 v5, 0x1000, v3
	v_med3_i32 v8, v8, 0, 13
	v_lshrrev_b32_e32 v10, v8, v5
	v_lshlrev_b32_e32 v8, v8, v10
	v_cmp_ne_u32_e32 vcc, v8, v5
	v_fma_f16 v7, v27, v9, -v7
	v_cndmask_b32_e64 v5, 0, 1, vcc
	v_add_u32_e32 v8, 0xfffffc10, v6
	v_cvt_f32_f16_e32 v7, v7
	v_or_b32_e32 v5, v10, v5
	v_lshl_or_b32 v6, v8, 12, v3
	v_cmp_gt_i32_e32 vcc, 1, v8
	v_cndmask_b32_e32 v5, v6, v5, vcc
	v_and_b32_e32 v6, 7, v5
	v_cmp_lt_i32_e32 vcc, 5, v6
	v_cmp_eq_u32_e64 s[0:1], 3, v6
	v_lshrrev_b32_e32 v9, 2, v5
	v_cvt_f64_f32_e32 v[5:6], v7
	s_or_b64 vcc, s[0:1], vcc
	v_addc_co_u32_e32 v7, vcc, 0, v9, vcc
	v_mul_f64 v[5:6], v[5:6], s[2:3]
	v_cmp_gt_i32_e32 vcc, 31, v8
	v_cndmask_b32_e32 v7, v0, v7, vcc
	v_cmp_ne_u32_e32 vcc, 0, v3
	v_cndmask_b32_e64 v3, 0, 1, vcc
	v_lshl_or_b32 v3, v3, 9, v0
	v_cmp_eq_u32_e32 vcc, s10, v8
	v_cndmask_b32_e32 v3, v7, v3, vcc
	v_lshrrev_b32_e32 v4, 16, v4
	v_and_or_b32 v9, v4, s11, v3
	v_and_or_b32 v3, v6, s6, v5
	v_cmp_ne_u32_e32 vcc, 0, v3
	v_cndmask_b32_e64 v3, 0, 1, vcc
	v_lshrrev_b32_e32 v4, 8, v6
	v_and_or_b32 v5, v4, s7, v3
	v_bfe_u32 v4, v6, 20, 11
	v_sub_u32_e32 v7, 0x3f1, v4
	v_or_b32_e32 v3, 0x1000, v5
	v_med3_i32 v7, v7, 0, 13
	v_lshrrev_b32_e32 v8, v7, v3
	v_lshlrev_b32_e32 v7, v7, v8
	v_cmp_ne_u32_e32 vcc, v7, v3
	v_cndmask_b32_e64 v3, 0, 1, vcc
	v_add_u32_e32 v7, 0xfffffc10, v4
	v_or_b32_e32 v3, v8, v3
	v_lshl_or_b32 v4, v7, 12, v5
	v_cmp_gt_i32_e32 vcc, 1, v7
	v_cndmask_b32_e32 v3, v4, v3, vcc
	v_and_b32_e32 v4, 7, v3
	v_cmp_lt_i32_e32 vcc, 5, v4
	v_cmp_eq_u32_e64 s[0:1], 3, v4
	v_lshrrev_b32_e32 v3, 2, v3
	s_or_b64 vcc, s[0:1], vcc
	v_addc_co_u32_e32 v8, vcc, 0, v3, vcc
	ds_read2_b32 v[3:4], v24 offset0:84 offset1:105
	v_cmp_gt_i32_e32 vcc, 31, v7
	v_cndmask_b32_e32 v8, v0, v8, vcc
	v_cmp_ne_u32_e32 vcc, 0, v5
	v_cndmask_b32_e64 v5, 0, 1, vcc
	s_waitcnt lgkmcnt(0)
	v_lshrrev_b32_e32 v10, 16, v3
	v_mul_f16_sdwa v11, v26, v10 dst_sel:DWORD dst_unused:UNUSED_PAD src0_sel:WORD_1 src1_sel:DWORD
	v_fma_f16 v11, v26, v3, v11
	v_cvt_f32_f16_e32 v11, v11
	v_lshl_or_b32 v5, v5, 9, v0
	v_cmp_eq_u32_e32 vcc, s10, v7
	v_cndmask_b32_e32 v5, v8, v5, vcc
	v_cvt_f64_f32_e32 v[7:8], v11
	v_lshrrev_b32_e32 v6, 16, v6
	v_and_or_b32 v11, v6, s11, v5
	v_add_co_u32_e32 v1, vcc, s5, v1
	v_mul_f64 v[5:6], v[7:8], s[2:3]
	v_mov_b32_e32 v8, s4
	v_and_b32_e32 v9, 0xffff, v9
	v_addc_co_u32_e32 v2, vcc, v2, v8, vcc
	v_lshl_or_b32 v7, v11, 16, v9
	global_store_dword v[1:2], v7, off
	v_mul_f16_sdwa v3, v26, v3 dst_sel:DWORD dst_unused:UNUSED_PAD src0_sel:WORD_1 src1_sel:DWORD
	v_and_or_b32 v5, v6, s6, v5
	v_cmp_ne_u32_e32 vcc, 0, v5
	v_cndmask_b32_e64 v5, 0, 1, vcc
	v_lshrrev_b32_e32 v7, 8, v6
	v_bfe_u32 v8, v6, 20, 11
	v_and_or_b32 v5, v7, s7, v5
	v_sub_u32_e32 v9, 0x3f1, v8
	v_or_b32_e32 v7, 0x1000, v5
	v_med3_i32 v9, v9, 0, 13
	v_lshrrev_b32_e32 v11, v9, v7
	v_lshlrev_b32_e32 v9, v9, v11
	v_cmp_ne_u32_e32 vcc, v9, v7
	v_fma_f16 v3, v26, v10, -v3
	v_cndmask_b32_e64 v7, 0, 1, vcc
	v_add_u32_e32 v9, 0xfffffc10, v8
	v_cvt_f32_f16_e32 v3, v3
	v_or_b32_e32 v7, v11, v7
	v_lshl_or_b32 v8, v9, 12, v5
	v_cmp_gt_i32_e32 vcc, 1, v9
	v_cndmask_b32_e32 v7, v8, v7, vcc
	v_and_b32_e32 v8, 7, v7
	v_cmp_lt_i32_e32 vcc, 5, v8
	v_cmp_eq_u32_e64 s[0:1], 3, v8
	v_lshrrev_b32_e32 v10, 2, v7
	v_cvt_f64_f32_e32 v[7:8], v3
	s_or_b64 vcc, s[0:1], vcc
	v_addc_co_u32_e32 v3, vcc, 0, v10, vcc
	v_mul_f64 v[7:8], v[7:8], s[2:3]
	v_cmp_gt_i32_e32 vcc, 31, v9
	v_cndmask_b32_e32 v3, v0, v3, vcc
	v_cmp_ne_u32_e32 vcc, 0, v5
	v_cndmask_b32_e64 v5, 0, 1, vcc
	v_lshl_or_b32 v5, v5, 9, v0
	v_cmp_eq_u32_e32 vcc, s10, v9
	v_cndmask_b32_e32 v3, v3, v5, vcc
	v_lshrrev_b32_e32 v5, 16, v6
	v_and_or_b32 v3, v5, s11, v3
	v_and_or_b32 v5, v8, s6, v7
	v_cmp_ne_u32_e32 vcc, 0, v5
	v_cndmask_b32_e64 v5, 0, 1, vcc
	v_lshrrev_b32_e32 v6, 8, v8
	v_bfe_u32 v7, v8, 20, 11
	v_and_or_b32 v5, v6, s7, v5
	v_sub_u32_e32 v9, 0x3f1, v7
	v_or_b32_e32 v6, 0x1000, v5
	v_med3_i32 v9, v9, 0, 13
	v_lshrrev_b32_e32 v10, v9, v6
	v_lshlrev_b32_e32 v9, v9, v10
	v_cmp_ne_u32_e32 vcc, v9, v6
	v_cndmask_b32_e64 v6, 0, 1, vcc
	v_add_u32_e32 v7, 0xfffffc10, v7
	v_or_b32_e32 v6, v10, v6
	v_lshl_or_b32 v9, v7, 12, v5
	v_cmp_gt_i32_e32 vcc, 1, v7
	v_cndmask_b32_e32 v6, v9, v6, vcc
	v_and_b32_e32 v9, 7, v6
	v_cmp_lt_i32_e32 vcc, 5, v9
	v_cmp_eq_u32_e64 s[0:1], 3, v9
	v_lshrrev_b32_e32 v9, 16, v4
	v_lshrrev_b32_e32 v6, 2, v6
	s_or_b64 vcc, s[0:1], vcc
	v_mul_f16_sdwa v10, v25, v9 dst_sel:DWORD dst_unused:UNUSED_PAD src0_sel:WORD_1 src1_sel:DWORD
	v_addc_co_u32_e32 v6, vcc, 0, v6, vcc
	v_fma_f16 v10, v25, v4, v10
	v_cmp_gt_i32_e32 vcc, 31, v7
	v_cvt_f32_f16_e32 v10, v10
	v_cndmask_b32_e32 v6, v0, v6, vcc
	v_cmp_ne_u32_e32 vcc, 0, v5
	v_cndmask_b32_e64 v5, 0, 1, vcc
	v_lshl_or_b32 v5, v5, 9, v0
	v_cmp_eq_u32_e32 vcc, s10, v7
	v_cndmask_b32_e32 v7, v6, v5, vcc
	v_cvt_f64_f32_e32 v[5:6], v10
	v_lshrrev_b32_e32 v8, 16, v8
	v_and_or_b32 v7, v8, s11, v7
	v_and_b32_e32 v3, 0xffff, v3
	v_mul_f64 v[5:6], v[5:6], s[2:3]
	v_lshl_or_b32 v3, v7, 16, v3
	v_mov_b32_e32 v7, s4
	v_add_co_u32_e32 v1, vcc, s5, v1
	v_addc_co_u32_e32 v2, vcc, v2, v7, vcc
	global_store_dword v[1:2], v3, off
	v_and_or_b32 v3, v6, s6, v5
	v_cmp_ne_u32_e32 vcc, 0, v3
	v_cndmask_b32_e64 v3, 0, 1, vcc
	v_lshrrev_b32_e32 v5, 8, v6
	v_bfe_u32 v7, v6, 20, 11
	v_and_or_b32 v5, v5, s7, v3
	v_sub_u32_e32 v8, 0x3f1, v7
	v_or_b32_e32 v3, 0x1000, v5
	v_med3_i32 v8, v8, 0, 13
	v_lshrrev_b32_e32 v10, v8, v3
	v_lshlrev_b32_e32 v8, v8, v10
	v_mul_f16_sdwa v4, v25, v4 dst_sel:DWORD dst_unused:UNUSED_PAD src0_sel:WORD_1 src1_sel:DWORD
	v_cmp_ne_u32_e32 vcc, v8, v3
	v_fma_f16 v4, v25, v9, -v4
	v_cndmask_b32_e64 v3, 0, 1, vcc
	v_add_u32_e32 v7, 0xfffffc10, v7
	v_cvt_f32_f16_e32 v4, v4
	v_or_b32_e32 v3, v10, v3
	v_lshl_or_b32 v8, v7, 12, v5
	v_cmp_gt_i32_e32 vcc, 1, v7
	v_cndmask_b32_e32 v3, v8, v3, vcc
	v_and_b32_e32 v8, 7, v3
	v_cmp_lt_i32_e32 vcc, 5, v8
	v_cmp_eq_u32_e64 s[0:1], 3, v8
	v_lshrrev_b32_e32 v8, 2, v3
	v_cvt_f64_f32_e32 v[3:4], v4
	s_or_b64 vcc, s[0:1], vcc
	v_addc_co_u32_e32 v8, vcc, 0, v8, vcc
	v_mul_f64 v[3:4], v[3:4], s[2:3]
	v_cmp_gt_i32_e32 vcc, 31, v7
	v_cndmask_b32_e32 v8, v0, v8, vcc
	v_cmp_ne_u32_e32 vcc, 0, v5
	v_cndmask_b32_e64 v5, 0, 1, vcc
	v_lshl_or_b32 v5, v5, 9, v0
	v_cmp_eq_u32_e32 vcc, s10, v7
	v_cndmask_b32_e32 v5, v8, v5, vcc
	v_and_or_b32 v3, v4, s6, v3
	v_lshrrev_b32_e32 v6, 16, v6
	v_cmp_ne_u32_e32 vcc, 0, v3
	v_and_or_b32 v7, v6, s11, v5
	v_cndmask_b32_e64 v3, 0, 1, vcc
	v_lshrrev_b32_e32 v5, 8, v4
	v_bfe_u32 v6, v4, 20, 11
	v_and_or_b32 v3, v5, s7, v3
	v_sub_u32_e32 v8, 0x3f1, v6
	v_or_b32_e32 v5, 0x1000, v3
	v_med3_i32 v8, v8, 0, 13
	v_lshrrev_b32_e32 v9, v8, v5
	v_lshlrev_b32_e32 v8, v8, v9
	v_cmp_ne_u32_e32 vcc, v8, v5
	v_cndmask_b32_e64 v5, 0, 1, vcc
	v_add_u32_e32 v6, 0xfffffc10, v6
	v_or_b32_e32 v5, v9, v5
	v_lshl_or_b32 v8, v6, 12, v3
	v_cmp_gt_i32_e32 vcc, 1, v6
	v_cndmask_b32_e32 v5, v8, v5, vcc
	v_and_b32_e32 v8, 7, v5
	v_cmp_lt_i32_e32 vcc, 5, v8
	v_cmp_eq_u32_e64 s[0:1], 3, v8
	ds_read_b32 v8, v24 offset:504
	v_lshrrev_b32_e32 v5, 2, v5
	s_or_b64 vcc, s[0:1], vcc
	v_addc_co_u32_e32 v5, vcc, 0, v5, vcc
	s_waitcnt lgkmcnt(0)
	v_lshrrev_b32_e32 v9, 16, v8
	v_mul_f16_sdwa v10, v23, v9 dst_sel:DWORD dst_unused:UNUSED_PAD src0_sel:WORD_1 src1_sel:DWORD
	v_fma_f16 v10, v23, v8, v10
	v_cmp_gt_i32_e32 vcc, 31, v6
	v_cvt_f32_f16_e32 v10, v10
	v_cndmask_b32_e32 v5, v0, v5, vcc
	v_cmp_ne_u32_e32 vcc, 0, v3
	v_cndmask_b32_e64 v3, 0, 1, vcc
	v_lshl_or_b32 v3, v3, 9, v0
	v_cmp_eq_u32_e32 vcc, s10, v6
	v_cndmask_b32_e32 v3, v5, v3, vcc
	v_cvt_f64_f32_e32 v[5:6], v10
	v_lshrrev_b32_e32 v4, 16, v4
	v_and_or_b32 v10, v4, s11, v3
	v_add_co_u32_e32 v1, vcc, s5, v1
	v_mul_f64 v[3:4], v[5:6], s[2:3]
	v_mov_b32_e32 v6, s4
	v_and_b32_e32 v7, 0xffff, v7
	v_addc_co_u32_e32 v2, vcc, v2, v6, vcc
	v_lshl_or_b32 v5, v10, 16, v7
	global_store_dword v[1:2], v5, off
	v_mul_f16_sdwa v8, v23, v8 dst_sel:DWORD dst_unused:UNUSED_PAD src0_sel:WORD_1 src1_sel:DWORD
	v_and_or_b32 v3, v4, s6, v3
	v_cmp_ne_u32_e32 vcc, 0, v3
	v_cndmask_b32_e64 v3, 0, 1, vcc
	v_lshrrev_b32_e32 v5, 8, v4
	v_bfe_u32 v6, v4, 20, 11
	v_and_or_b32 v3, v5, s7, v3
	v_sub_u32_e32 v7, 0x3f1, v6
	v_or_b32_e32 v5, 0x1000, v3
	v_med3_i32 v7, v7, 0, 13
	v_lshrrev_b32_e32 v10, v7, v5
	v_lshlrev_b32_e32 v7, v7, v10
	v_cmp_ne_u32_e32 vcc, v7, v5
	v_fma_f16 v8, v23, v9, -v8
	v_cndmask_b32_e64 v5, 0, 1, vcc
	v_add_u32_e32 v7, 0xfffffc10, v6
	v_cvt_f32_f16_e32 v8, v8
	v_or_b32_e32 v5, v10, v5
	v_lshl_or_b32 v6, v7, 12, v3
	v_cmp_gt_i32_e32 vcc, 1, v7
	v_cndmask_b32_e32 v5, v6, v5, vcc
	v_and_b32_e32 v6, 7, v5
	v_cmp_lt_i32_e32 vcc, 5, v6
	v_cmp_eq_u32_e64 s[0:1], 3, v6
	v_lshrrev_b32_e32 v9, 2, v5
	v_cvt_f64_f32_e32 v[5:6], v8
	s_or_b64 vcc, s[0:1], vcc
	v_addc_co_u32_e32 v8, vcc, 0, v9, vcc
	v_mul_f64 v[5:6], v[5:6], s[2:3]
	v_cmp_gt_i32_e32 vcc, 31, v7
	v_cndmask_b32_e32 v8, v0, v8, vcc
	v_cmp_ne_u32_e32 vcc, 0, v3
	v_cndmask_b32_e64 v3, 0, 1, vcc
	v_lshl_or_b32 v3, v3, 9, v0
	v_cmp_eq_u32_e32 vcc, s10, v7
	v_cndmask_b32_e32 v3, v8, v3, vcc
	v_lshrrev_b32_e32 v4, 16, v4
	v_and_or_b32 v3, v4, s11, v3
	v_and_or_b32 v4, v6, s6, v5
	v_cmp_ne_u32_e32 vcc, 0, v4
	v_cndmask_b32_e64 v4, 0, 1, vcc
	v_lshrrev_b32_e32 v5, 8, v6
	v_bfe_u32 v7, v6, 20, 11
	v_and_or_b32 v4, v5, s7, v4
	v_sub_u32_e32 v8, 0x3f1, v7
	v_or_b32_e32 v5, 0x1000, v4
	v_med3_i32 v8, v8, 0, 13
	v_lshrrev_b32_e32 v9, v8, v5
	v_lshlrev_b32_e32 v8, v8, v9
	v_cmp_ne_u32_e32 vcc, v8, v5
	v_cndmask_b32_e64 v5, 0, 1, vcc
	v_add_u32_e32 v7, 0xfffffc10, v7
	v_or_b32_e32 v5, v9, v5
	v_lshl_or_b32 v8, v7, 12, v4
	v_cmp_gt_i32_e32 vcc, 1, v7
	v_cndmask_b32_e32 v5, v8, v5, vcc
	v_and_b32_e32 v8, 7, v5
	v_cmp_lt_i32_e32 vcc, 5, v8
	v_cmp_eq_u32_e64 s[0:1], 3, v8
	v_lshrrev_b32_e32 v5, 2, v5
	s_or_b64 vcc, s[0:1], vcc
	v_addc_co_u32_e32 v5, vcc, 0, v5, vcc
	v_cmp_gt_i32_e32 vcc, 31, v7
	v_cndmask_b32_e32 v5, v0, v5, vcc
	v_cmp_ne_u32_e32 vcc, 0, v4
	v_cndmask_b32_e64 v4, 0, 1, vcc
	v_lshl_or_b32 v0, v4, 9, v0
	v_cmp_eq_u32_e32 vcc, s10, v7
	v_cndmask_b32_e32 v0, v5, v0, vcc
	v_lshrrev_b32_e32 v4, 16, v6
	v_and_or_b32 v0, v4, s11, v0
	v_and_b32_e32 v3, 0xffff, v3
	v_lshl_or_b32 v3, v0, 16, v3
	v_mov_b32_e32 v4, s4
	v_add_co_u32_e32 v0, vcc, s5, v1
	v_addc_co_u32_e32 v1, vcc, v2, v4, vcc
	global_store_dword v[0:1], v3, off
.LBB0_10:
	s_endpgm
	.section	.rodata,"a",@progbits
	.p2align	6, 0x0
	.amdhsa_kernel bluestein_single_back_len147_dim1_half_op_CI_CI
		.amdhsa_group_segment_fixed_size 1764
		.amdhsa_private_segment_fixed_size 0
		.amdhsa_kernarg_size 104
		.amdhsa_user_sgpr_count 6
		.amdhsa_user_sgpr_private_segment_buffer 1
		.amdhsa_user_sgpr_dispatch_ptr 0
		.amdhsa_user_sgpr_queue_ptr 0
		.amdhsa_user_sgpr_kernarg_segment_ptr 1
		.amdhsa_user_sgpr_dispatch_id 0
		.amdhsa_user_sgpr_flat_scratch_init 0
		.amdhsa_user_sgpr_private_segment_size 0
		.amdhsa_uses_dynamic_stack 0
		.amdhsa_system_sgpr_private_segment_wavefront_offset 0
		.amdhsa_system_sgpr_workgroup_id_x 1
		.amdhsa_system_sgpr_workgroup_id_y 0
		.amdhsa_system_sgpr_workgroup_id_z 0
		.amdhsa_system_sgpr_workgroup_info 0
		.amdhsa_system_vgpr_workitem_id 0
		.amdhsa_next_free_vgpr 60
		.amdhsa_next_free_sgpr 20
		.amdhsa_reserve_vcc 1
		.amdhsa_reserve_flat_scratch 0
		.amdhsa_float_round_mode_32 0
		.amdhsa_float_round_mode_16_64 0
		.amdhsa_float_denorm_mode_32 3
		.amdhsa_float_denorm_mode_16_64 3
		.amdhsa_dx10_clamp 1
		.amdhsa_ieee_mode 1
		.amdhsa_fp16_overflow 0
		.amdhsa_exception_fp_ieee_invalid_op 0
		.amdhsa_exception_fp_denorm_src 0
		.amdhsa_exception_fp_ieee_div_zero 0
		.amdhsa_exception_fp_ieee_overflow 0
		.amdhsa_exception_fp_ieee_underflow 0
		.amdhsa_exception_fp_ieee_inexact 0
		.amdhsa_exception_int_div_zero 0
	.end_amdhsa_kernel
	.text
.Lfunc_end0:
	.size	bluestein_single_back_len147_dim1_half_op_CI_CI, .Lfunc_end0-bluestein_single_back_len147_dim1_half_op_CI_CI
                                        ; -- End function
	.section	.AMDGPU.csdata,"",@progbits
; Kernel info:
; codeLenInByte = 9128
; NumSgprs: 24
; NumVgprs: 60
; ScratchSize: 0
; MemoryBound: 0
; FloatMode: 240
; IeeeMode: 1
; LDSByteSize: 1764 bytes/workgroup (compile time only)
; SGPRBlocks: 2
; VGPRBlocks: 14
; NumSGPRsForWavesPerEU: 24
; NumVGPRsForWavesPerEU: 60
; Occupancy: 4
; WaveLimiterHint : 1
; COMPUTE_PGM_RSRC2:SCRATCH_EN: 0
; COMPUTE_PGM_RSRC2:USER_SGPR: 6
; COMPUTE_PGM_RSRC2:TRAP_HANDLER: 0
; COMPUTE_PGM_RSRC2:TGID_X_EN: 1
; COMPUTE_PGM_RSRC2:TGID_Y_EN: 0
; COMPUTE_PGM_RSRC2:TGID_Z_EN: 0
; COMPUTE_PGM_RSRC2:TIDIG_COMP_CNT: 0
	.type	__hip_cuid_201621913d23c7c4,@object ; @__hip_cuid_201621913d23c7c4
	.section	.bss,"aw",@nobits
	.globl	__hip_cuid_201621913d23c7c4
__hip_cuid_201621913d23c7c4:
	.byte	0                               ; 0x0
	.size	__hip_cuid_201621913d23c7c4, 1

	.ident	"AMD clang version 19.0.0git (https://github.com/RadeonOpenCompute/llvm-project roc-6.4.0 25133 c7fe45cf4b819c5991fe208aaa96edf142730f1d)"
	.section	".note.GNU-stack","",@progbits
	.addrsig
	.addrsig_sym __hip_cuid_201621913d23c7c4
	.amdgpu_metadata
---
amdhsa.kernels:
  - .args:
      - .actual_access:  read_only
        .address_space:  global
        .offset:         0
        .size:           8
        .value_kind:     global_buffer
      - .actual_access:  read_only
        .address_space:  global
        .offset:         8
        .size:           8
        .value_kind:     global_buffer
      - .actual_access:  read_only
        .address_space:  global
        .offset:         16
        .size:           8
        .value_kind:     global_buffer
      - .actual_access:  read_only
        .address_space:  global
        .offset:         24
        .size:           8
        .value_kind:     global_buffer
      - .actual_access:  read_only
        .address_space:  global
        .offset:         32
        .size:           8
        .value_kind:     global_buffer
      - .offset:         40
        .size:           8
        .value_kind:     by_value
      - .address_space:  global
        .offset:         48
        .size:           8
        .value_kind:     global_buffer
      - .address_space:  global
        .offset:         56
        .size:           8
        .value_kind:     global_buffer
      - .address_space:  global
        .offset:         64
        .size:           8
        .value_kind:     global_buffer
      - .address_space:  global
        .offset:         72
        .size:           8
        .value_kind:     global_buffer
      - .offset:         80
        .size:           4
        .value_kind:     by_value
      - .address_space:  global
        .offset:         88
        .size:           8
        .value_kind:     global_buffer
      - .address_space:  global
        .offset:         96
        .size:           8
        .value_kind:     global_buffer
    .group_segment_fixed_size: 1764
    .kernarg_segment_align: 8
    .kernarg_segment_size: 104
    .language:       OpenCL C
    .language_version:
      - 2
      - 0
    .max_flat_workgroup_size: 63
    .name:           bluestein_single_back_len147_dim1_half_op_CI_CI
    .private_segment_fixed_size: 0
    .sgpr_count:     24
    .sgpr_spill_count: 0
    .symbol:         bluestein_single_back_len147_dim1_half_op_CI_CI.kd
    .uniform_work_group_size: 1
    .uses_dynamic_stack: false
    .vgpr_count:     60
    .vgpr_spill_count: 0
    .wavefront_size: 64
amdhsa.target:   amdgcn-amd-amdhsa--gfx906
amdhsa.version:
  - 1
  - 2
...

	.end_amdgpu_metadata
